;; amdgpu-corpus repo=ROCm/rocFFT kind=compiled arch=gfx906 opt=O3
	.text
	.amdgcn_target "amdgcn-amd-amdhsa--gfx906"
	.amdhsa_code_object_version 6
	.protected	fft_rtc_fwd_len243_factors_3_3_3_3_3_wgs_216_tpt_27_sp_op_CI_CI_sbrc_unaligned ; -- Begin function fft_rtc_fwd_len243_factors_3_3_3_3_3_wgs_216_tpt_27_sp_op_CI_CI_sbrc_unaligned
	.globl	fft_rtc_fwd_len243_factors_3_3_3_3_3_wgs_216_tpt_27_sp_op_CI_CI_sbrc_unaligned
	.p2align	8
	.type	fft_rtc_fwd_len243_factors_3_3_3_3_3_wgs_216_tpt_27_sp_op_CI_CI_sbrc_unaligned,@function
fft_rtc_fwd_len243_factors_3_3_3_3_3_wgs_216_tpt_27_sp_op_CI_CI_sbrc_unaligned: ; @fft_rtc_fwd_len243_factors_3_3_3_3_3_wgs_216_tpt_27_sp_op_CI_CI_sbrc_unaligned
; %bb.0:
	s_load_dwordx8 s[8:15], s[4:5], 0x0
	s_mov_b32 s34, 0
	s_mov_b32 s30, 3
	s_mov_b64 s[36:37], 2
	s_mov_b32 s40, s34
	s_waitcnt lgkmcnt(0)
	s_load_dword s33, s[12:13], 0x8
	s_load_dwordx4 s[20:23], s[4:5], 0x58
	s_load_dwordx2 s[28:29], s[4:5], 0x20
	s_load_dwordx4 s[24:27], s[14:15], 0x0
	s_waitcnt lgkmcnt(0)
	s_add_i32 s0, s33, -1
	s_lshr_b32 s0, s0, 3
	s_add_i32 s7, s0, 1
	v_cvt_f32_u32_e32 v1, s7
	s_sub_i32 s2, 0, s7
	s_load_dwordx4 s[16:19], s[28:29], 0x0
	v_cmp_gt_u64_e64 s[0:1], s[10:11], 2
	v_rcp_iflag_f32_e32 v1, v1
	v_mul_f32_e32 v1, 0x4f7ffffe, v1
	v_cvt_u32_f32_e32 v1, v1
	v_readfirstlane_b32 s3, v1
	s_mul_i32 s2, s2, s3
	s_mul_hi_u32 s2, s3, s2
	s_add_i32 s3, s3, s2
	s_mul_hi_u32 s2, s6, s3
	s_mul_i32 s3, s2, s7
	s_sub_i32 s3, s6, s3
	s_add_i32 s4, s2, 1
	s_sub_i32 s5, s3, s7
	s_cmp_ge_u32 s3, s7
	s_cselect_b32 s2, s4, s2
	s_cselect_b32 s3, s5, s3
	s_add_i32 s4, s2, 1
	s_cmp_ge_u32 s3, s7
	s_cselect_b32 s27, s4, s2
	s_mul_i32 s2, s27, s7
	s_sub_i32 s2, s6, s2
	s_waitcnt lgkmcnt(0)
	s_lshl_b32 s19, s2, 3
	s_mul_i32 s3, s17, s19
	s_mul_hi_u32 s4, s16, s19
	s_mul_i32 s41, s19, s26
	s_mul_i32 s2, s16, s19
	s_add_i32 s3, s4, s3
	s_and_b64 vcc, exec, s[0:1]
	s_cbranch_vccz .LBB0_9
; %bb.1:
	v_mov_b32_e32 v1, s10
	v_mov_b32_e32 v2, s11
.LBB0_2:                                ; =>This Inner Loop Header: Depth=1
	s_lshl_b64 s[4:5], s[36:37], 3
	s_add_u32 s0, s12, s4
	s_addc_u32 s1, s13, s5
	s_load_dwordx2 s[36:37], s[0:1], 0x0
	s_waitcnt lgkmcnt(0)
	s_mov_b32 s35, s37
	s_cmp_lg_u64 s[34:35], 0
	s_cbranch_scc0 .LBB0_7
; %bb.3:                                ;   in Loop: Header=BB0_2 Depth=1
	v_cvt_f32_u32_e32 v3, s36
	v_cvt_f32_u32_e32 v4, s37
	s_sub_u32 s0, 0, s36
	s_subb_u32 s1, 0, s37
	v_mac_f32_e32 v3, 0x4f800000, v4
	v_rcp_f32_e32 v3, v3
	v_mul_f32_e32 v3, 0x5f7ffffc, v3
	v_mul_f32_e32 v4, 0x2f800000, v3
	v_trunc_f32_e32 v4, v4
	v_mac_f32_e32 v3, 0xcf800000, v4
	v_cvt_u32_f32_e32 v4, v4
	v_cvt_u32_f32_e32 v3, v3
	v_readfirstlane_b32 s31, v4
	v_readfirstlane_b32 s35, v3
	s_mul_i32 s38, s0, s31
	s_mul_hi_u32 s42, s0, s35
	s_mul_i32 s39, s1, s35
	s_add_i32 s38, s42, s38
	s_mul_i32 s43, s0, s35
	s_add_i32 s38, s38, s39
	s_mul_hi_u32 s39, s35, s38
	s_mul_i32 s42, s35, s38
	s_mul_hi_u32 s35, s35, s43
	s_add_u32 s35, s35, s42
	s_addc_u32 s39, 0, s39
	s_mul_hi_u32 s44, s31, s43
	s_mul_i32 s43, s31, s43
	s_add_u32 s35, s35, s43
	s_mul_hi_u32 s42, s31, s38
	s_addc_u32 s35, s39, s44
	s_addc_u32 s39, s42, 0
	s_mul_i32 s38, s31, s38
	s_add_u32 s35, s35, s38
	s_addc_u32 s38, 0, s39
	v_add_co_u32_e32 v3, vcc, s35, v3
	s_cmp_lg_u64 vcc, 0
	s_addc_u32 s31, s31, s38
	v_readfirstlane_b32 s38, v3
	s_mul_i32 s35, s0, s31
	s_mul_hi_u32 s39, s0, s38
	s_add_i32 s35, s39, s35
	s_mul_i32 s1, s1, s38
	s_add_i32 s35, s35, s1
	s_mul_i32 s0, s0, s38
	s_mul_hi_u32 s39, s31, s0
	s_mul_i32 s42, s31, s0
	s_mul_i32 s44, s38, s35
	s_mul_hi_u32 s0, s38, s0
	s_mul_hi_u32 s43, s38, s35
	s_add_u32 s0, s0, s44
	s_addc_u32 s38, 0, s43
	s_add_u32 s0, s0, s42
	s_mul_hi_u32 s1, s31, s35
	s_addc_u32 s0, s38, s39
	s_addc_u32 s1, s1, 0
	s_mul_i32 s35, s31, s35
	s_add_u32 s0, s0, s35
	s_addc_u32 s1, 0, s1
	v_add_co_u32_e32 v3, vcc, s0, v3
	s_cmp_lg_u64 vcc, 0
	s_addc_u32 s0, s31, s1
	v_readfirstlane_b32 s31, v3
	s_mul_hi_u32 s1, s27, s0
	s_mul_i32 s0, s27, s0
	s_mul_hi_u32 s31, s27, s31
	s_add_u32 s0, s31, s0
	s_addc_u32 s31, 0, s1
	s_mul_i32 s0, s37, s31
	s_mul_hi_u32 s1, s36, s31
	s_add_i32 s35, s1, s0
	s_mul_i32 s1, s36, s31
	v_mov_b32_e32 v3, s1
	s_sub_i32 s0, 0, s35
	v_sub_co_u32_e32 v3, vcc, s27, v3
	s_cmp_lg_u64 vcc, 0
	s_subb_u32 s38, s0, s37
	v_subrev_co_u32_e64 v4, s[0:1], s36, v3
	s_cmp_lg_u64 s[0:1], 0
	s_subb_u32 s0, s38, 0
	s_cmp_ge_u32 s0, s37
	v_readfirstlane_b32 s38, v4
	s_cselect_b32 s1, -1, 0
	s_cmp_ge_u32 s38, s36
	s_cselect_b32 s38, -1, 0
	s_cmp_eq_u32 s0, s37
	s_cselect_b32 s0, s38, s1
	s_add_u32 s1, s31, 1
	s_addc_u32 s38, 0, 0
	s_add_u32 s39, s31, 2
	s_addc_u32 s42, 0, 0
	s_cmp_lg_u32 s0, 0
	s_cselect_b32 s0, s39, s1
	s_cselect_b32 s1, s42, s38
	s_cmp_lg_u64 vcc, 0
	s_subb_u32 s35, 0, s35
	s_cmp_ge_u32 s35, s37
	v_readfirstlane_b32 s39, v3
	s_cselect_b32 s38, -1, 0
	s_cmp_ge_u32 s39, s36
	s_cselect_b32 s39, -1, 0
	s_cmp_eq_u32 s35, s37
	s_cselect_b32 s35, s39, s38
	s_cmp_lg_u32 s35, 0
	s_cselect_b32 s1, s1, 0
	s_cselect_b32 s0, s0, s31
	s_cbranch_execnz .LBB0_5
.LBB0_4:                                ;   in Loop: Header=BB0_2 Depth=1
	v_cvt_f32_u32_e32 v3, s36
	s_sub_i32 s0, 0, s36
	v_rcp_iflag_f32_e32 v3, v3
	v_mul_f32_e32 v3, 0x4f7ffffe, v3
	v_cvt_u32_f32_e32 v3, v3
	v_readfirstlane_b32 s1, v3
	s_mul_i32 s0, s0, s1
	s_mul_hi_u32 s0, s1, s0
	s_add_i32 s1, s1, s0
	s_mul_hi_u32 s0, s27, s1
	s_mul_i32 s31, s0, s36
	s_sub_i32 s31, s27, s31
	s_add_i32 s1, s0, 1
	s_sub_i32 s35, s31, s36
	s_cmp_ge_u32 s31, s36
	s_cselect_b32 s0, s1, s0
	s_cselect_b32 s31, s35, s31
	s_add_i32 s1, s0, 1
	s_cmp_ge_u32 s31, s36
	s_cselect_b32 s0, s1, s0
	s_mov_b32 s1, s34
.LBB0_5:                                ;   in Loop: Header=BB0_2 Depth=1
	s_mul_i32 s31, s0, s37
	s_mul_hi_u32 s35, s0, s36
	s_add_i32 s31, s35, s31
	s_mul_i32 s1, s1, s36
	s_add_i32 s31, s31, s1
	s_mul_i32 s1, s0, s36
	s_sub_u32 s1, s27, s1
	s_subb_u32 s27, 0, s31
	s_add_u32 s38, s14, s4
	s_addc_u32 s39, s15, s5
	s_load_dwordx2 s[38:39], s[38:39], 0x0
	s_mul_i32 s7, s7, s36
	s_waitcnt lgkmcnt(0)
	s_mul_i32 s31, s38, s27
	s_mul_hi_u32 s35, s38, s1
	s_add_i32 s31, s35, s31
	s_mul_i32 s35, s39, s1
	s_add_i32 s31, s31, s35
	s_mul_i32 s35, s38, s1
	s_add_u32 s41, s35, s41
	s_addc_u32 s40, s31, s40
	s_add_u32 s4, s28, s4
	s_addc_u32 s5, s29, s5
	s_load_dwordx2 s[4:5], s[4:5], 0x0
	s_waitcnt lgkmcnt(0)
	s_mul_i32 s27, s4, s27
	s_mul_hi_u32 s31, s4, s1
	s_add_i32 s27, s31, s27
	s_mul_i32 s5, s5, s1
	s_mov_b32 s31, s34
	s_add_i32 s27, s27, s5
	s_mul_i32 s1, s4, s1
	v_cmp_ge_u64_e32 vcc, s[30:31], v[1:2]
	s_add_u32 s2, s1, s2
	s_addc_u32 s3, s27, s3
	s_mov_b64 s[36:37], s[30:31]
	s_add_i32 s30, s30, 1
	s_cbranch_vccnz .LBB0_8
; %bb.6:                                ;   in Loop: Header=BB0_2 Depth=1
	s_mov_b32 s27, s0
	s_branch .LBB0_2
.LBB0_7:                                ;   in Loop: Header=BB0_2 Depth=1
                                        ; implicit-def: $sgpr0_sgpr1
	s_branch .LBB0_4
.LBB0_8:
	v_cvt_f32_u32_e32 v1, s7
	s_sub_i32 s0, 0, s7
	v_rcp_iflag_f32_e32 v1, v1
	v_mul_f32_e32 v1, 0x4f7ffffe, v1
	v_cvt_u32_f32_e32 v1, v1
	v_readfirstlane_b32 s1, v1
	s_mul_i32 s0, s0, s1
	s_mul_hi_u32 s0, s1, s0
	s_add_i32 s1, s1, s0
	s_mul_hi_u32 s0, s6, s1
	s_mul_i32 s1, s0, s7
	s_sub_i32 s1, s6, s1
	s_add_i32 s4, s0, 1
	s_sub_i32 s5, s1, s7
	s_cmp_ge_u32 s1, s7
	s_cselect_b32 s0, s4, s0
	s_cselect_b32 s1, s5, s1
	s_add_i32 s4, s0, 1
	s_cmp_ge_u32 s1, s7
	s_cselect_b32 s27, s4, s0
.LBB0_9:
	s_lshl_b64 s[0:1], s[10:11], 3
	s_add_u32 s4, s14, s0
	s_addc_u32 s5, s15, s1
	s_load_dwordx2 s[4:5], s[4:5], 0x0
	s_mov_b64 s[10:11], -1
	v_lshl_add_u32 v3, v0, 3, 0
	s_waitcnt lgkmcnt(0)
	s_mul_i32 s5, s5, s27
	s_mul_hi_u32 s6, s4, s27
	s_mul_i32 s4, s4, s27
	s_add_i32 s5, s6, s5
	s_add_u32 s6, s4, s41
	s_addc_u32 s7, s5, s40
	s_add_u32 s0, s28, s0
	s_addc_u32 s1, s29, s1
	s_load_dwordx2 s[0:1], s[0:1], 0x0
	s_add_i32 s4, s19, 8
	s_cmp_le_u32 s4, s33
	s_cselect_b64 s[4:5], -1, 0
	s_and_b64 vcc, exec, s[4:5]
	s_cbranch_vccnz .LBB0_13
; %bb.10:
	s_lshl_b64 s[10:11], s[6:7], 3
	s_add_u32 s12, s20, s10
	s_addc_u32 s14, s21, s11
	s_mov_b64 s[10:11], 0
	s_movk_i32 s13, 0xdb3
	v_mov_b32_e32 v2, 0
	v_mov_b32_e32 v4, s14
	s_movk_i32 s14, 0x797
	v_mov_b32_e32 v5, v0
	v_mov_b32_e32 v6, v3
.LBB0_11:                               ; =>This Inner Loop Header: Depth=1
	v_mul_u32_u24_sdwa v1, v5, s13 dst_sel:DWORD dst_unused:UNUSED_PAD src0_sel:WORD_0 src1_sel:DWORD
	v_sub_u16_sdwa v7, v5, v1 dst_sel:DWORD dst_unused:UNUSED_PAD src0_sel:DWORD src1_sel:WORD_1
	v_lshrrev_b16_e32 v7, 1, v7
	v_add_u16_sdwa v1, v7, v1 dst_sel:DWORD dst_unused:UNUSED_PAD src0_sel:DWORD src1_sel:WORD_1
	v_lshrrev_b16_e32 v1, 7, v1
	v_mul_lo_u16_e32 v7, 0xf3, v1
	v_sub_u16_e32 v11, v5, v7
	v_mul_lo_u32 v1, s26, v1
	v_mad_u64_u32 v[7:8], s[28:29], s24, v11, 0
	v_add_u32_e32 v5, 0xd8, v5
	v_lshlrev_b64 v[9:10], 3, v[1:2]
	v_mov_b32_e32 v1, v8
	v_mad_u64_u32 v[11:12], s[28:29], s25, v11, v[1:2]
	v_mov_b32_e32 v8, v11
	v_lshlrev_b64 v[7:8], 3, v[7:8]
	v_add_co_u32_e32 v1, vcc, s12, v7
	v_addc_co_u32_e32 v8, vcc, v4, v8, vcc
	v_add_co_u32_e32 v7, vcc, v1, v9
	v_addc_co_u32_e32 v8, vcc, v8, v10, vcc
	global_load_dwordx2 v[7:8], v[7:8], off
	v_cmp_lt_u32_e32 vcc, s14, v5
	s_or_b64 s[10:11], vcc, s[10:11]
	s_waitcnt vmcnt(0)
	ds_write_b64 v6, v[7:8]
	v_add_u32_e32 v6, 0x6c0, v6
	s_andn2_b64 exec, exec, s[10:11]
	s_cbranch_execnz .LBB0_11
; %bb.12:
	s_or_b64 exec, exec, s[10:11]
	s_mov_b64 s[10:11], 0
.LBB0_13:
	s_and_b64 vcc, exec, s[10:11]
	s_cbranch_vccz .LBB0_15
; %bb.14:
	s_movk_i32 s10, 0x10e
	v_mul_u32_u24_sdwa v1, v0, s10 dst_sel:DWORD dst_unused:UNUSED_PAD src0_sel:WORD_0 src1_sel:DWORD
	v_lshrrev_b32_e32 v4, 16, v1
	v_mul_lo_u16_e32 v1, 0xf3, v4
	v_sub_u16_e32 v6, v0, v1
	v_mad_u64_u32 v[1:2], s[10:11], s24, v6, 0
	s_lshl_b64 s[6:7], s[6:7], 3
	v_mul_lo_u32 v4, s26, v4
	v_mad_u64_u32 v[6:7], s[10:11], s25, v6, v[2:3]
	s_add_u32 s6, s20, s6
	s_addc_u32 s7, s21, s7
	v_mov_b32_e32 v2, v6
	v_add_u32_e32 v6, 0xd8, v0
	v_mul_u32_u24_e32 v7, 0x10e, v6
	v_lshrrev_b32_e32 v9, 16, v7
	v_mul_lo_u16_e32 v7, 0xf3, v9
	v_sub_u16_e32 v10, v6, v7
	v_mad_u64_u32 v[6:7], s[10:11], s24, v10, 0
	v_lshlrev_b64 v[1:2], 3, v[1:2]
	v_mov_b32_e32 v5, 0
	v_mov_b32_e32 v8, s7
	v_add_co_u32_e32 v11, vcc, s6, v1
	v_addc_co_u32_e32 v12, vcc, v8, v2, vcc
	v_lshlrev_b64 v[1:2], 3, v[4:5]
	v_mov_b32_e32 v4, v7
	v_mad_u64_u32 v[7:8], s[10:11], s25, v10, v[4:5]
	v_add_u32_e32 v8, 0x1b0, v0
	v_mul_lo_u32 v4, s26, v9
	v_mul_u32_u24_e32 v9, 0x437, v8
	v_add_co_u32_e32 v1, vcc, v11, v1
	v_lshrrev_b32_e32 v11, 18, v9
	v_mul_lo_u16_e32 v9, 0xf3, v11
	v_addc_co_u32_e32 v2, vcc, v12, v2, vcc
	v_sub_u16_e32 v12, v8, v9
	v_mad_u64_u32 v[8:9], s[10:11], s24, v12, 0
	v_lshlrev_b64 v[6:7], 3, v[6:7]
	v_mov_b32_e32 v10, s7
	v_add_co_u32_e32 v13, vcc, s6, v6
	v_addc_co_u32_e32 v14, vcc, v10, v7, vcc
	v_lshlrev_b64 v[6:7], 3, v[4:5]
	v_mov_b32_e32 v4, v9
	v_mad_u64_u32 v[9:10], s[10:11], s25, v12, v[4:5]
	v_add_u32_e32 v10, 0x288, v0
	v_mul_lo_u32 v4, s26, v11
	v_mul_u32_u24_e32 v11, 0x437, v10
	v_add_co_u32_e32 v6, vcc, v13, v6
	v_lshrrev_b32_e32 v13, 18, v11
	v_mul_lo_u16_e32 v11, 0xf3, v13
	v_addc_co_u32_e32 v7, vcc, v14, v7, vcc
	v_sub_u16_e32 v14, v10, v11
	v_mad_u64_u32 v[10:11], s[10:11], s24, v14, 0
	v_lshlrev_b64 v[8:9], 3, v[8:9]
	;; [unrolled: 16-line block ×7, first 2 shown]
	v_mov_b32_e32 v22, s7
	v_add_co_u32_e32 v25, vcc, s6, v18
	v_addc_co_u32_e32 v26, vcc, v22, v19, vcc
	v_lshlrev_b64 v[18:19], 3, v[4:5]
	v_mov_b32_e32 v4, v21
	v_mad_u64_u32 v[21:22], s[10:11], s25, v24, v[4:5]
	v_mul_lo_u32 v4, s26, v23
	v_add_co_u32_e32 v18, vcc, v25, v18
	v_lshlrev_b64 v[20:21], 3, v[20:21]
	v_addc_co_u32_e32 v19, vcc, v26, v19, vcc
	v_mov_b32_e32 v22, s7
	v_add_co_u32_e32 v20, vcc, s6, v20
	v_lshlrev_b64 v[4:5], 3, v[4:5]
	v_addc_co_u32_e32 v21, vcc, v22, v21, vcc
	v_add_co_u32_e32 v4, vcc, v20, v4
	v_addc_co_u32_e32 v5, vcc, v21, v5, vcc
	global_load_dwordx2 v[20:21], v[1:2], off
	global_load_dwordx2 v[22:23], v[6:7], off
	;; [unrolled: 1-line block ×9, first 2 shown]
	v_add_u32_e32 v1, 0xd00, v3
	s_waitcnt vmcnt(7)
	ds_write2_b64 v3, v[20:21], v[22:23] offset1:216
	s_waitcnt vmcnt(5)
	ds_write2_b64 v1, v[24:25], v[26:27] offset0:16 offset1:232
	v_add_u32_e32 v1, 0x1a00, v3
	s_waitcnt vmcnt(3)
	ds_write2_b64 v1, v[28:29], v[30:31] offset0:32 offset1:248
	v_add_u32_e32 v1, 0x2800, v3
	s_waitcnt vmcnt(1)
	ds_write2_b64 v1, v[32:33], v[34:35] offset0:16 offset1:232
	s_waitcnt vmcnt(0)
	ds_write_b64 v3, v[36:37] offset:13824
.LBB0_15:
	s_mov_b32 s6, 0x2f684bdb
	v_mul_hi_u32 v1, v0, s6
	s_movk_i32 s6, 0x97c
	v_mov_b32_e32 v2, 7
	s_waitcnt lgkmcnt(0)
	v_sub_u32_e32 v3, v0, v1
	v_lshrrev_b32_e32 v3, 1, v3
	v_add_u32_e32 v1, v3, v1
	v_lshrrev_b32_e32 v1, 4, v1
	v_mul_lo_u32 v1, v1, 27
	v_mul_u32_u24_sdwa v3, v0, s6 dst_sel:DWORD dst_unused:UNUSED_PAD src0_sel:WORD_0 src1_sel:DWORD
	v_and_b32_sdwa v2, v3, v2 dst_sel:DWORD dst_unused:UNUSED_PAD src0_sel:WORD_1 src1_sel:DWORD
	v_mul_lo_u16_e32 v2, 0xf3, v2
	v_sub_u32_e32 v24, v0, v1
	v_lshlrev_b32_e32 v7, 3, v2
	v_add_u32_e32 v3, 0, v7
	v_lshlrev_b32_e32 v1, 3, v24
	v_add_u32_e32 v2, v3, v1
	v_add3_u32 v1, 0, v1, v7
	s_barrier
	ds_read_b64 v[5:6], v2
	ds_read2_b64 v[8:11], v1 offset0:81 offset1:108
	ds_read2_b64 v[12:15], v1 offset0:135 offset1:162
	ds_read2_b64 v[16:19], v1 offset0:27 offset1:54
	ds_read2_b64 v[20:23], v1 offset0:189 offset1:216
	s_waitcnt lgkmcnt(0)
	s_barrier
	v_add_f32_e32 v4, v5, v8
	v_add_f32_e32 v25, v8, v14
	v_add_f32_e32 v28, v9, v15
	v_add_f32_e32 v27, v6, v9
	v_sub_f32_e32 v29, v8, v14
	v_add_f32_e32 v8, v4, v14
	v_add_f32_e32 v4, v18, v12
	;; [unrolled: 1-line block ×3, first 2 shown]
	v_fma_f32 v5, -0.5, v25, v5
	v_fmac_f32_e32 v6, -0.5, v28
	v_sub_f32_e32 v26, v9, v15
	v_add_f32_e32 v30, v16, v10
	v_add_f32_e32 v9, v27, v15
	;; [unrolled: 1-line block ×3, first 2 shown]
	v_sub_f32_e32 v36, v13, v23
	v_add_f32_e32 v37, v13, v23
	v_sub_f32_e32 v38, v12, v22
	v_add_f32_e32 v12, v4, v22
	v_add_f32_e32 v13, v14, v23
	v_mov_b32_e32 v14, v5
	v_mov_b32_e32 v15, v6
	v_lshlrev_b32_e32 v4, 4, v24
	v_add_f32_e32 v31, v10, v20
	v_add_f32_e32 v34, v11, v21
	v_sub_f32_e32 v35, v10, v20
	v_add_f32_e32 v10, v30, v20
	v_fmac_f32_e32 v14, 0x3f5db3d7, v26
	v_fmac_f32_e32 v15, 0xbf5db3d7, v29
	v_add_u32_e32 v20, v1, v4
	ds_write2_b64 v20, v[8:9], v[14:15] offset1:1
	v_fma_f32 v8, -0.5, v31, v16
	v_fma_f32 v9, -0.5, v34, v17
	v_sub_f32_e32 v32, v11, v21
	v_add_f32_e32 v33, v17, v11
	v_mov_b32_e32 v14, v8
	v_mov_b32_e32 v15, v9
	v_add_f32_e32 v11, v33, v21
	v_fmac_f32_e32 v14, 0x3f5db3d7, v32
	v_fmac_f32_e32 v15, 0xbf5db3d7, v35
	ds_write2_b64 v20, v[10:11], v[14:15] offset0:81 offset1:82
	v_fma_f32 v10, -0.5, v27, v18
	v_fmac_f32_e32 v19, -0.5, v37
	v_fmac_f32_e32 v5, 0xbf5db3d7, v26
	v_fmac_f32_e32 v6, 0x3f5db3d7, v29
	;; [unrolled: 1-line block ×4, first 2 shown]
	v_mov_b32_e32 v11, v10
	v_mov_b32_e32 v14, v19
	v_fmac_f32_e32 v11, 0x3f5db3d7, v36
	v_fmac_f32_e32 v14, 0xbf5db3d7, v38
	ds_write2_b64 v20, v[5:6], v[8:9] offset0:2 offset1:83
	ds_write_b64 v20, v[12:13] offset:1296
	v_add_u32_e32 v5, 0x400, v20
	v_fmac_f32_e32 v10, 0xbf5db3d7, v36
	v_fmac_f32_e32 v19, 0x3f5db3d7, v38
	ds_write2_b32 v5, v11, v14 offset0:70 offset1:71
	ds_write2_b32 v5, v10, v19 offset0:72 offset1:73
	v_mul_lo_u16_e32 v5, 0x56, v24
	v_lshrrev_b16_e32 v25, 8, v5
	v_mul_lo_u16_e32 v5, 3, v25
	v_sub_u16_e32 v26, v24, v5
	v_mov_b32_e32 v27, 4
	v_lshlrev_b32_sdwa v5, v27, v26 dst_sel:DWORD dst_unused:UNUSED_PAD src0_sel:DWORD src1_sel:BYTE_0
	s_waitcnt lgkmcnt(0)
	s_barrier
	global_load_dwordx4 v[8:11], v5, s[8:9]
	v_add_u32_e32 v5, 27, v24
	v_mul_lo_u16_e32 v6, 0x56, v5
	v_lshrrev_b16_e32 v28, 8, v6
	v_mul_lo_u16_e32 v6, 3, v28
	v_sub_u16_e32 v29, v5, v6
	v_lshlrev_b32_sdwa v6, v27, v29 dst_sel:DWORD dst_unused:UNUSED_PAD src0_sel:DWORD src1_sel:BYTE_0
	global_load_dwordx4 v[12:15], v6, s[8:9]
	ds_read2_b64 v[16:19], v1 offset0:81 offset1:108
	ds_read2_b64 v[20:23], v1 offset0:135 offset1:162
	s_movk_i32 s6, 0x48
	s_waitcnt vmcnt(1) lgkmcnt(1)
	v_mul_f32_e32 v6, v9, v17
	v_fma_f32 v30, v8, v16, -v6
	v_mul_f32_e32 v16, v9, v16
	s_waitcnt lgkmcnt(0)
	v_mul_f32_e32 v6, v11, v23
	v_fmac_f32_e32 v16, v8, v17
	v_fma_f32 v17, v10, v22, -v6
	v_mul_f32_e32 v22, v11, v22
	v_fmac_f32_e32 v22, v10, v23
	ds_read2_b64 v[8:11], v1 offset0:189 offset1:216
	s_waitcnt vmcnt(0)
	v_mul_f32_e32 v6, v13, v19
	v_fma_f32 v23, v12, v18, -v6
	v_mul_f32_e32 v18, v13, v18
	v_fmac_f32_e32 v18, v12, v19
	s_waitcnt lgkmcnt(0)
	v_mul_f32_e32 v6, v15, v9
	v_fma_f32 v19, v14, v8, -v6
	v_add_u32_e32 v6, 54, v24
	v_mul_f32_e32 v31, v15, v8
	v_mul_lo_u16_e32 v8, 0x56, v6
	v_lshrrev_b16_e32 v32, 8, v8
	v_mul_lo_u16_e32 v8, 3, v32
	v_sub_u16_e32 v33, v6, v8
	v_lshlrev_b32_sdwa v8, v27, v33 dst_sel:DWORD dst_unused:UNUSED_PAD src0_sel:DWORD src1_sel:BYTE_0
	v_fmac_f32_e32 v31, v14, v9
	global_load_dwordx4 v[12:15], v8, s[8:9]
	v_add_f32_e32 v9, v30, v17
	v_sub_f32_e32 v36, v16, v22
	s_waitcnt vmcnt(0)
	v_mul_f32_e32 v8, v13, v21
	v_fma_f32 v34, v12, v20, -v8
	v_mul_f32_e32 v20, v13, v20
	v_fmac_f32_e32 v20, v12, v21
	ds_read_b64 v[12:13], v2
	v_mul_f32_e32 v8, v11, v15
	v_fma_f32 v21, v10, v14, -v8
	v_mul_f32_e32 v35, v10, v15
	v_fmac_f32_e32 v35, v11, v14
	s_waitcnt lgkmcnt(0)
	v_add_f32_e32 v8, v12, v30
	v_add_f32_e32 v14, v8, v17
	;; [unrolled: 1-line block ×5, first 2 shown]
	v_fmac_f32_e32 v13, -0.5, v8
	v_mad_u32_u24 v8, v25, s6, 0
	v_mov_b32_e32 v25, 3
	v_fma_f32 v12, -0.5, v9, v12
	v_lshlrev_b32_sdwa v9, v25, v26 dst_sel:DWORD dst_unused:UNUSED_PAD src0_sel:DWORD src1_sel:BYTE_0
	v_add3_u32 v26, v8, v9, v7
	ds_read2_b64 v[8:11], v1 offset0:27 offset1:54
	v_sub_f32_e32 v22, v30, v17
	v_mov_b32_e32 v16, v12
	v_mov_b32_e32 v17, v13
	v_fmac_f32_e32 v16, 0x3f5db3d7, v36
	v_fmac_f32_e32 v17, 0xbf5db3d7, v22
	s_waitcnt lgkmcnt(0)
	s_barrier
	ds_write2_b64 v26, v[14:15], v[16:17] offset1:3
	v_fmac_f32_e32 v12, 0xbf5db3d7, v36
	v_fmac_f32_e32 v13, 0x3f5db3d7, v22
	v_add_f32_e32 v14, v18, v31
	v_add_f32_e32 v15, v23, v19
	ds_write_b64 v26, v[12:13] offset:48
	v_add_f32_e32 v12, v8, v23
	v_add_f32_e32 v13, v9, v18
	v_fma_f32 v8, -0.5, v15, v8
	v_fma_f32 v9, -0.5, v14, v9
	v_mad_u32_u24 v14, v28, s6, 0
	v_lshlrev_b32_sdwa v15, v25, v29 dst_sel:DWORD dst_unused:UNUSED_PAD src0_sel:DWORD src1_sel:BYTE_0
	v_sub_f32_e32 v16, v18, v31
	v_sub_f32_e32 v17, v23, v19
	v_add3_u32 v18, v14, v15, v7
	v_mov_b32_e32 v14, v8
	v_mov_b32_e32 v15, v9
	v_add_f32_e32 v12, v12, v19
	v_add_f32_e32 v13, v13, v31
	v_fmac_f32_e32 v14, 0x3f5db3d7, v16
	v_fmac_f32_e32 v15, 0xbf5db3d7, v17
	ds_write2_b64 v18, v[12:13], v[14:15] offset1:3
	v_add_f32_e32 v12, v34, v21
	v_add_f32_e32 v13, v10, v34
	v_fma_f32 v10, -0.5, v12, v10
	v_sub_f32_e32 v14, v20, v35
	v_mov_b32_e32 v12, v10
	v_fmac_f32_e32 v12, 0x3f5db3d7, v14
	v_fmac_f32_e32 v10, 0xbf5db3d7, v14
	v_add_f32_e32 v14, v13, v21
	v_add_f32_e32 v13, v11, v20
	;; [unrolled: 1-line block ×4, first 2 shown]
	v_fmac_f32_e32 v8, 0xbf5db3d7, v16
	v_fmac_f32_e32 v9, 0x3f5db3d7, v17
	v_fmac_f32_e32 v11, -0.5, v13
	v_sub_f32_e32 v16, v34, v21
	v_mov_b32_e32 v13, v11
	ds_write_b64 v18, v[8:9] offset:48
	v_mad_u32_u24 v8, v32, s6, 0
	v_lshlrev_b32_sdwa v9, v25, v33 dst_sel:DWORD dst_unused:UNUSED_PAD src0_sel:DWORD src1_sel:BYTE_0
	v_fmac_f32_e32 v13, 0xbf5db3d7, v16
	v_add3_u32 v8, v8, v9, v7
	v_fmac_f32_e32 v11, 0x3f5db3d7, v16
	ds_write2_b64 v8, v[14:15], v[12:13] offset1:3
	ds_write_b64 v8, v[10:11] offset:48
	v_mul_lo_u16_e32 v8, 29, v24
	v_lshrrev_b16_e32 v26, 8, v8
	v_mul_lo_u16_e32 v8, 9, v26
	v_sub_u16_e32 v24, v24, v8
	v_mul_lo_u16_e32 v12, 57, v5
	v_lshlrev_b32_sdwa v8, v27, v24 dst_sel:DWORD dst_unused:UNUSED_PAD src0_sel:DWORD src1_sel:BYTE_0
	v_lshrrev_b16_e32 v28, 9, v12
	s_waitcnt lgkmcnt(0)
	s_barrier
	global_load_dwordx4 v[8:11], v8, s[8:9] offset:48
	v_mul_lo_u16_e32 v12, 9, v28
	v_sub_u16_e32 v29, v5, v12
	v_lshlrev_b32_sdwa v12, v27, v29 dst_sel:DWORD dst_unused:UNUSED_PAD src0_sel:DWORD src1_sel:BYTE_0
	global_load_dwordx4 v[12:15], v12, s[8:9] offset:48
	ds_read2_b64 v[16:19], v1 offset0:81 offset1:108
	ds_read2_b64 v[20:23], v1 offset0:135 offset1:162
	s_movk_i32 s6, 0xd8
	s_waitcnt vmcnt(1) lgkmcnt(1)
	v_mul_f32_e32 v30, v9, v17
	v_fma_f32 v30, v8, v16, -v30
	v_mul_f32_e32 v16, v9, v16
	v_fmac_f32_e32 v16, v8, v17
	s_waitcnt lgkmcnt(0)
	v_mul_f32_e32 v8, v11, v23
	v_fma_f32 v17, v10, v22, -v8
	v_mul_f32_e32 v22, v11, v22
	s_waitcnt vmcnt(0)
	v_mul_f32_e32 v8, v13, v19
	v_fmac_f32_e32 v22, v10, v23
	v_fma_f32 v23, v12, v18, -v8
	ds_read2_b64 v[8:11], v1 offset0:189 offset1:216
	v_mul_f32_e32 v18, v13, v18
	v_fmac_f32_e32 v18, v12, v19
	v_sub_f32_e32 v35, v16, v22
	s_waitcnt lgkmcnt(0)
	v_mul_f32_e32 v12, v15, v9
	v_fma_f32 v19, v14, v8, -v12
	v_mul_f32_e32 v31, v15, v8
	v_mul_lo_u16_e32 v8, 57, v6
	v_lshrrev_b16_e32 v32, 9, v8
	v_mul_lo_u16_e32 v8, 9, v32
	v_sub_u16_e32 v33, v6, v8
	v_lshlrev_b32_sdwa v8, v27, v33 dst_sel:DWORD dst_unused:UNUSED_PAD src0_sel:DWORD src1_sel:BYTE_0
	v_fmac_f32_e32 v31, v14, v9
	global_load_dwordx4 v[12:15], v8, s[8:9] offset:48
	v_add_f32_e32 v9, v30, v17
	s_waitcnt vmcnt(0)
	v_mul_f32_e32 v8, v13, v21
	v_fma_f32 v27, v12, v20, -v8
	v_mul_f32_e32 v20, v13, v20
	v_fmac_f32_e32 v20, v12, v21
	ds_read_b64 v[12:13], v2
	v_mul_f32_e32 v8, v11, v15
	v_fma_f32 v21, v10, v14, -v8
	v_mul_f32_e32 v34, v10, v15
	v_fmac_f32_e32 v34, v11, v14
	s_waitcnt lgkmcnt(0)
	v_add_f32_e32 v8, v12, v30
	v_add_f32_e32 v14, v8, v17
	;; [unrolled: 1-line block ×5, first 2 shown]
	v_fma_f32 v12, -0.5, v9, v12
	v_fmac_f32_e32 v13, -0.5, v8
	v_mad_u32_u24 v8, v26, s6, 0
	v_lshlrev_b32_sdwa v9, v25, v24 dst_sel:DWORD dst_unused:UNUSED_PAD src0_sel:DWORD src1_sel:BYTE_0
	v_add3_u32 v24, v8, v9, v7
	ds_read2_b64 v[8:11], v1 offset0:27 offset1:54
	v_sub_f32_e32 v22, v30, v17
	v_mov_b32_e32 v16, v12
	v_mov_b32_e32 v17, v13
	v_fmac_f32_e32 v16, 0x3f5db3d7, v35
	v_fmac_f32_e32 v17, 0xbf5db3d7, v22
	s_waitcnt lgkmcnt(0)
	s_barrier
	ds_write2_b64 v24, v[14:15], v[16:17] offset1:9
	v_fmac_f32_e32 v12, 0xbf5db3d7, v35
	v_fmac_f32_e32 v13, 0x3f5db3d7, v22
	v_add_f32_e32 v14, v18, v31
	v_add_f32_e32 v15, v23, v19
	ds_write_b64 v24, v[12:13] offset:144
	v_add_f32_e32 v12, v8, v23
	v_add_f32_e32 v13, v9, v18
	v_fma_f32 v8, -0.5, v15, v8
	v_fma_f32 v9, -0.5, v14, v9
	v_mad_u32_u24 v14, v28, s6, 0
	v_lshlrev_b32_sdwa v15, v25, v29 dst_sel:DWORD dst_unused:UNUSED_PAD src0_sel:DWORD src1_sel:BYTE_0
	v_sub_f32_e32 v16, v18, v31
	v_sub_f32_e32 v17, v23, v19
	v_add3_u32 v18, v14, v15, v7
	v_mov_b32_e32 v14, v8
	v_mov_b32_e32 v15, v9
	v_add_f32_e32 v12, v12, v19
	v_add_f32_e32 v13, v13, v31
	v_fmac_f32_e32 v14, 0x3f5db3d7, v16
	v_fmac_f32_e32 v15, 0xbf5db3d7, v17
	ds_write2_b64 v18, v[12:13], v[14:15] offset1:9
	v_add_f32_e32 v12, v27, v21
	v_add_f32_e32 v13, v10, v27
	v_fma_f32 v10, -0.5, v12, v10
	v_sub_f32_e32 v14, v20, v34
	v_mov_b32_e32 v12, v10
	v_fmac_f32_e32 v12, 0x3f5db3d7, v14
	v_fmac_f32_e32 v10, 0xbf5db3d7, v14
	v_add_f32_e32 v14, v13, v21
	v_add_f32_e32 v13, v11, v20
	;; [unrolled: 1-line block ×4, first 2 shown]
	v_fmac_f32_e32 v8, 0xbf5db3d7, v16
	v_fmac_f32_e32 v9, 0x3f5db3d7, v17
	v_fmac_f32_e32 v11, -0.5, v13
	v_sub_f32_e32 v16, v27, v21
	v_mov_b32_e32 v13, v11
	ds_write_b64 v18, v[8:9] offset:144
	v_mad_u32_u24 v8, v32, s6, 0
	v_lshlrev_b32_sdwa v9, v25, v33 dst_sel:DWORD dst_unused:UNUSED_PAD src0_sel:DWORD src1_sel:BYTE_0
	v_fmac_f32_e32 v13, 0xbf5db3d7, v16
	v_add3_u32 v7, v8, v9, v7
	v_fmac_f32_e32 v11, 0x3f5db3d7, v16
	ds_write2_b64 v7, v[14:15], v[12:13] offset1:9
	ds_write_b64 v7, v[10:11] offset:144
	s_waitcnt lgkmcnt(0)
	s_barrier
	global_load_dwordx4 v[7:10], v4, s[8:9] offset:192
	v_mul_lo_u16_e32 v11, 19, v6
	v_lshrrev_b16_e32 v11, 9, v11
	v_mul_lo_u16_e32 v11, 27, v11
	v_sub_u16_e32 v11, v6, v11
	v_and_b32_e32 v23, 0xff, v11
	v_lshlrev_b32_e32 v11, 4, v23
	global_load_dwordx4 v[11:14], v11, s[8:9] offset:192
	ds_read2_b64 v[15:18], v1 offset0:81 offset1:108
	v_lshl_add_u32 v3, v23, 3, v3
	s_waitcnt vmcnt(1) lgkmcnt(0)
	v_mul_f32_e32 v19, v8, v16
	v_fma_f32 v24, v7, v15, -v19
	v_mul_f32_e32 v25, v8, v15
	v_mul_f32_e32 v15, v8, v18
	ds_read2_b64 v[19:22], v1 offset0:135 offset1:162
	v_mul_f32_e32 v27, v8, v17
	v_fmac_f32_e32 v25, v7, v16
	v_fma_f32 v26, v7, v17, -v15
	v_fmac_f32_e32 v27, v7, v18
	ds_read2_b64 v[15:18], v1 offset0:189 offset1:216
	s_waitcnt lgkmcnt(1)
	v_mul_f32_e32 v7, v10, v22
	v_mul_f32_e32 v8, v10, v21
	v_fma_f32 v7, v9, v21, -v7
	v_fmac_f32_e32 v8, v9, v22
	s_waitcnt lgkmcnt(0)
	v_mul_f32_e32 v21, v10, v16
	v_mul_f32_e32 v22, v10, v15
	v_fma_f32 v21, v9, v15, -v21
	v_fmac_f32_e32 v22, v9, v16
	s_waitcnt vmcnt(0)
	v_mul_f32_e32 v9, v12, v20
	v_mul_f32_e32 v29, v12, v19
	v_fma_f32 v28, v11, v19, -v9
	v_fmac_f32_e32 v29, v11, v20
	ds_read_b64 v[11:12], v2
	v_mul_f32_e32 v9, v18, v14
	v_fma_f32 v30, v17, v13, -v9
	v_mul_f32_e32 v31, v17, v14
	v_fmac_f32_e32 v31, v18, v13
	s_waitcnt lgkmcnt(0)
	v_add_f32_e32 v9, v11, v24
	v_add_f32_e32 v13, v9, v7
	;; [unrolled: 1-line block ×5, first 2 shown]
	v_sub_f32_e32 v17, v25, v8
	v_add_f32_e32 v8, v25, v8
	v_fma_f32 v11, -0.5, v10, v11
	v_fmac_f32_e32 v12, -0.5, v8
	v_sub_f32_e32 v18, v24, v7
	ds_read2_b64 v[7:10], v1 offset0:27 offset1:54
	v_mov_b32_e32 v15, v11
	v_mov_b32_e32 v16, v12
	v_fmac_f32_e32 v15, 0x3f5db3d7, v17
	v_fmac_f32_e32 v16, 0xbf5db3d7, v18
	s_waitcnt lgkmcnt(0)
	s_barrier
	ds_write2_b64 v1, v[13:14], v[15:16] offset1:27
	v_add_f32_e32 v13, v26, v21
	v_fma_f32 v13, -0.5, v13, v7
	v_add_f32_e32 v7, v7, v26
	v_fmac_f32_e32 v11, 0xbf5db3d7, v17
	v_add_f32_e32 v17, v7, v21
	v_add_f32_e32 v7, v8, v27
	v_fmac_f32_e32 v12, 0x3f5db3d7, v18
	v_sub_f32_e32 v14, v27, v22
	v_mov_b32_e32 v15, v13
	v_add_f32_e32 v18, v7, v22
	v_add_f32_e32 v7, v27, v22
	v_fmac_f32_e32 v15, 0x3f5db3d7, v14
	v_fmac_f32_e32 v13, 0xbf5db3d7, v14
	v_fma_f32 v14, -0.5, v7, v8
	v_sub_f32_e32 v7, v26, v21
	v_mov_b32_e32 v16, v14
	v_fmac_f32_e32 v16, 0xbf5db3d7, v7
	v_fmac_f32_e32 v14, 0x3f5db3d7, v7
	v_add_f32_e32 v7, v28, v30
	v_add_f32_e32 v8, v9, v28
	v_fma_f32 v9, -0.5, v7, v9
	v_sub_f32_e32 v19, v29, v31
	v_mov_b32_e32 v7, v9
	v_fmac_f32_e32 v7, 0x3f5db3d7, v19
	v_fmac_f32_e32 v9, 0xbf5db3d7, v19
	v_add_f32_e32 v19, v8, v30
	v_add_f32_e32 v8, v10, v29
	;; [unrolled: 1-line block ×4, first 2 shown]
	v_fmac_f32_e32 v10, -0.5, v8
	v_sub_f32_e32 v21, v28, v30
	v_mov_b32_e32 v8, v10
	v_fmac_f32_e32 v8, 0xbf5db3d7, v21
	v_fmac_f32_e32 v10, 0x3f5db3d7, v21
	ds_write2_b64 v1, v[11:12], v[17:18] offset0:54 offset1:81
	ds_write2_b64 v1, v[15:16], v[13:14] offset0:108 offset1:135
	;; [unrolled: 1-line block ×3, first 2 shown]
	ds_write_b64 v3, v[9:10] offset:1728
	s_waitcnt lgkmcnt(0)
	s_barrier
	global_load_dwordx4 v[7:10], v4, s[8:9] offset:624
	v_lshlrev_b32_e32 v3, 4, v5
	global_load_dwordx4 v[11:14], v3, s[8:9] offset:624
	v_lshlrev_b32_e32 v3, 4, v6
	global_load_dwordx4 v[3:6], v3, s[8:9] offset:624
	ds_read2_b64 v[15:18], v1 offset0:81 offset1:108
	ds_read2_b64 v[19:22], v1 offset0:135 offset1:162
	s_waitcnt vmcnt(2) lgkmcnt(1)
	v_mul_f32_e32 v23, v8, v16
	v_fma_f32 v23, v7, v15, -v23
	v_mul_f32_e32 v15, v8, v15
	v_fmac_f32_e32 v15, v7, v16
	s_waitcnt lgkmcnt(0)
	v_mul_f32_e32 v7, v10, v22
	v_fma_f32 v16, v9, v21, -v7
	v_mul_f32_e32 v21, v10, v21
	v_fmac_f32_e32 v21, v9, v22
	ds_read2_b64 v[7:10], v1 offset0:189 offset1:216
	s_waitcnt vmcnt(1)
	v_mul_f32_e32 v22, v12, v18
	v_fma_f32 v22, v11, v17, -v22
	v_mul_f32_e32 v17, v12, v17
	v_fmac_f32_e32 v17, v11, v18
	s_waitcnt lgkmcnt(0)
	v_mul_f32_e32 v11, v14, v8
	v_fma_f32 v18, v13, v7, -v11
	v_mul_f32_e32 v24, v14, v7
	s_waitcnt vmcnt(0)
	v_mul_f32_e32 v7, v4, v20
	v_fmac_f32_e32 v24, v13, v8
	v_fma_f32 v25, v3, v19, -v7
	ds_read_b64 v[7:8], v2
	v_mul_f32_e32 v19, v4, v19
	v_mul_f32_e32 v2, v10, v6
	v_fmac_f32_e32 v19, v3, v20
	v_fma_f32 v20, v9, v5, -v2
	s_waitcnt lgkmcnt(0)
	v_add_f32_e32 v2, v7, v23
	v_mul_f32_e32 v6, v9, v6
	v_add_f32_e32 v9, v2, v16
	v_add_f32_e32 v2, v23, v16
	v_fma_f32 v7, -0.5, v2, v7
	v_sub_f32_e32 v2, v15, v21
	v_mov_b32_e32 v11, v7
	v_fmac_f32_e32 v11, 0x3f5db3d7, v2
	v_fmac_f32_e32 v7, 0xbf5db3d7, v2
	v_add_f32_e32 v2, v8, v15
	v_fmac_f32_e32 v6, v10, v5
	v_add_f32_e32 v10, v2, v21
	ds_read2_b64 v[2:5], v1 offset0:27 offset1:54
	v_add_f32_e32 v12, v15, v21
	v_fmac_f32_e32 v8, -0.5, v12
	v_add_f32_e32 v14, v22, v18
	v_sub_f32_e32 v13, v23, v16
	v_mov_b32_e32 v12, v8
	s_waitcnt lgkmcnt(0)
	v_fma_f32 v15, -0.5, v14, v2
	v_fmac_f32_e32 v12, 0xbf5db3d7, v13
	v_fmac_f32_e32 v8, 0x3f5db3d7, v13
	v_add_f32_e32 v13, v2, v22
	v_sub_f32_e32 v2, v17, v24
	v_mov_b32_e32 v16, v15
	v_fmac_f32_e32 v16, 0x3f5db3d7, v2
	v_fmac_f32_e32 v15, 0xbf5db3d7, v2
	v_add_f32_e32 v2, v3, v17
	v_add_f32_e32 v14, v2, v24
	;; [unrolled: 1-line block ×3, first 2 shown]
	v_fma_f32 v17, -0.5, v2, v3
	v_add_f32_e32 v13, v13, v18
	v_sub_f32_e32 v2, v22, v18
	v_mov_b32_e32 v18, v17
	v_fmac_f32_e32 v18, 0xbf5db3d7, v2
	v_fmac_f32_e32 v17, 0x3f5db3d7, v2
	v_add_f32_e32 v2, v25, v20
	v_fma_f32 v21, -0.5, v2, v4
	v_sub_f32_e32 v2, v19, v6
	v_mov_b32_e32 v22, v21
	v_fmac_f32_e32 v22, 0x3f5db3d7, v2
	v_fmac_f32_e32 v21, 0xbf5db3d7, v2
	v_add_f32_e32 v2, v4, v25
	v_add_f32_e32 v4, v19, v6
	;; [unrolled: 1-line block ×3, first 2 shown]
	v_fmac_f32_e32 v5, -0.5, v4
	v_add_f32_e32 v3, v3, v6
	v_sub_f32_e32 v4, v25, v20
	v_mov_b32_e32 v6, v5
	v_fmac_f32_e32 v6, 0xbf5db3d7, v4
	v_fmac_f32_e32 v5, 0x3f5db3d7, v4
	v_add_u32_e32 v4, 0x400, v1
	v_add_f32_e32 v2, v2, v20
	s_barrier
	ds_write_b64 v1, v[7:8] offset:1296
	ds_write2_b64 v1, v[9:10], v[13:14] offset1:27
	ds_write2_b32 v1, v16, v18 offset0:216 offset1:217
	ds_write2_b32 v4, v15, v17 offset0:122 offset1:123
	ds_write2_b64 v1, v[2:3], v[11:12] offset0:54 offset1:81
	ds_write2_b32 v4, v22, v6 offset0:14 offset1:15
	ds_write2_b32 v4, v21, v5 offset0:176 offset1:177
	v_and_b32_e32 v1, 7, v0
	v_or_b32_e32 v2, s19, v1
	v_cmp_gt_u32_e32 vcc, s33, v2
	s_or_b64 s[4:5], s[4:5], vcc
	s_waitcnt lgkmcnt(0)
	s_barrier
	s_and_saveexec_b64 s[6:7], s[4:5]
	s_cbranch_execz .LBB0_17
; %bb.16:
	v_mad_u64_u32 v[4:5], s[4:5], s16, v1, 0
	s_mul_i32 s1, s1, s27
	s_mul_hi_u32 s6, s0, s27
	v_mov_b32_e32 v2, v5
	v_mad_u64_u32 v[2:3], s[4:5], s17, v1, v[2:3]
	s_add_i32 s1, s6, s1
	s_mul_i32 s0, s0, s27
	s_lshl_b64 s[0:1], s[0:1], 3
	v_lshrrev_b32_e32 v3, 3, v0
	s_add_u32 s4, s22, s0
	v_mov_b32_e32 v5, v2
	v_mul_lo_u32 v6, v3, s18
	s_addc_u32 s5, s23, s1
	s_lshl_b64 s[0:1], s[2:3], 3
	v_mul_u32_u24_e32 v1, 0x798, v1
	v_and_b32_e32 v0, 0xf8, v0
	s_add_u32 s0, s4, s0
	v_lshlrev_b64 v[4:5], 3, v[4:5]
	v_add3_u32 v8, 0, v1, v0
	s_addc_u32 s1, s5, s1
	v_mov_b32_e32 v7, 0
	ds_read2_b64 v[0:3], v8 offset1:27
	v_mov_b32_e32 v9, s1
	v_add_co_u32_e32 v10, vcc, s0, v4
	v_addc_co_u32_e32 v9, vcc, v9, v5, vcc
	v_lshlrev_b64 v[4:5], 3, v[6:7]
	s_mul_i32 s0, s18, 27
	v_add_co_u32_e32 v4, vcc, v10, v4
	v_addc_co_u32_e32 v5, vcc, v9, v5, vcc
	v_add_u32_e32 v6, s0, v6
	s_waitcnt lgkmcnt(0)
	global_store_dwordx2 v[4:5], v[0:1], off
	v_lshlrev_b64 v[0:1], 3, v[6:7]
	v_add_u32_e32 v6, s0, v6
	v_add_co_u32_e32 v0, vcc, v10, v0
	v_addc_co_u32_e32 v1, vcc, v9, v1, vcc
	global_store_dwordx2 v[0:1], v[2:3], off
	ds_read2_b64 v[0:3], v8 offset0:54 offset1:81
	v_lshlrev_b64 v[4:5], 3, v[6:7]
	v_add_u32_e32 v6, s0, v6
	v_add_co_u32_e32 v4, vcc, v10, v4
	v_addc_co_u32_e32 v5, vcc, v9, v5, vcc
	s_waitcnt lgkmcnt(0)
	global_store_dwordx2 v[4:5], v[0:1], off
	v_lshlrev_b64 v[0:1], 3, v[6:7]
	v_add_u32_e32 v6, s0, v6
	v_add_co_u32_e32 v0, vcc, v10, v0
	v_addc_co_u32_e32 v1, vcc, v9, v1, vcc
	global_store_dwordx2 v[0:1], v[2:3], off
	ds_read2_b64 v[0:3], v8 offset0:108 offset1:135
	v_lshlrev_b64 v[4:5], 3, v[6:7]
	v_add_u32_e32 v6, s0, v6
	v_add_co_u32_e32 v4, vcc, v10, v4
	v_addc_co_u32_e32 v5, vcc, v9, v5, vcc
	;; [unrolled: 12-line block ×3, first 2 shown]
	s_waitcnt lgkmcnt(0)
	global_store_dwordx2 v[4:5], v[0:1], off
	v_lshlrev_b64 v[0:1], 3, v[6:7]
	v_add_u32_e32 v6, s0, v6
	v_add_co_u32_e32 v0, vcc, v10, v0
	v_addc_co_u32_e32 v1, vcc, v9, v1, vcc
	global_store_dwordx2 v[0:1], v[2:3], off
	ds_read_b64 v[0:1], v8 offset:1728
	v_lshlrev_b64 v[2:3], 3, v[6:7]
	v_add_co_u32_e32 v2, vcc, v10, v2
	v_addc_co_u32_e32 v3, vcc, v9, v3, vcc
	s_waitcnt lgkmcnt(0)
	global_store_dwordx2 v[2:3], v[0:1], off
.LBB0_17:
	s_endpgm
	.section	.rodata,"a",@progbits
	.p2align	6, 0x0
	.amdhsa_kernel fft_rtc_fwd_len243_factors_3_3_3_3_3_wgs_216_tpt_27_sp_op_CI_CI_sbrc_unaligned
		.amdhsa_group_segment_fixed_size 0
		.amdhsa_private_segment_fixed_size 0
		.amdhsa_kernarg_size 104
		.amdhsa_user_sgpr_count 6
		.amdhsa_user_sgpr_private_segment_buffer 1
		.amdhsa_user_sgpr_dispatch_ptr 0
		.amdhsa_user_sgpr_queue_ptr 0
		.amdhsa_user_sgpr_kernarg_segment_ptr 1
		.amdhsa_user_sgpr_dispatch_id 0
		.amdhsa_user_sgpr_flat_scratch_init 0
		.amdhsa_user_sgpr_private_segment_size 0
		.amdhsa_uses_dynamic_stack 0
		.amdhsa_system_sgpr_private_segment_wavefront_offset 0
		.amdhsa_system_sgpr_workgroup_id_x 1
		.amdhsa_system_sgpr_workgroup_id_y 0
		.amdhsa_system_sgpr_workgroup_id_z 0
		.amdhsa_system_sgpr_workgroup_info 0
		.amdhsa_system_vgpr_workitem_id 0
		.amdhsa_next_free_vgpr 39
		.amdhsa_next_free_sgpr 45
		.amdhsa_reserve_vcc 1
		.amdhsa_reserve_flat_scratch 0
		.amdhsa_float_round_mode_32 0
		.amdhsa_float_round_mode_16_64 0
		.amdhsa_float_denorm_mode_32 3
		.amdhsa_float_denorm_mode_16_64 3
		.amdhsa_dx10_clamp 1
		.amdhsa_ieee_mode 1
		.amdhsa_fp16_overflow 0
		.amdhsa_exception_fp_ieee_invalid_op 0
		.amdhsa_exception_fp_denorm_src 0
		.amdhsa_exception_fp_ieee_div_zero 0
		.amdhsa_exception_fp_ieee_overflow 0
		.amdhsa_exception_fp_ieee_underflow 0
		.amdhsa_exception_fp_ieee_inexact 0
		.amdhsa_exception_int_div_zero 0
	.end_amdhsa_kernel
	.text
.Lfunc_end0:
	.size	fft_rtc_fwd_len243_factors_3_3_3_3_3_wgs_216_tpt_27_sp_op_CI_CI_sbrc_unaligned, .Lfunc_end0-fft_rtc_fwd_len243_factors_3_3_3_3_3_wgs_216_tpt_27_sp_op_CI_CI_sbrc_unaligned
                                        ; -- End function
	.section	.AMDGPU.csdata,"",@progbits
; Kernel info:
; codeLenInByte = 5820
; NumSgprs: 49
; NumVgprs: 39
; ScratchSize: 0
; MemoryBound: 0
; FloatMode: 240
; IeeeMode: 1
; LDSByteSize: 0 bytes/workgroup (compile time only)
; SGPRBlocks: 6
; VGPRBlocks: 9
; NumSGPRsForWavesPerEU: 49
; NumVGPRsForWavesPerEU: 39
; Occupancy: 6
; WaveLimiterHint : 1
; COMPUTE_PGM_RSRC2:SCRATCH_EN: 0
; COMPUTE_PGM_RSRC2:USER_SGPR: 6
; COMPUTE_PGM_RSRC2:TRAP_HANDLER: 0
; COMPUTE_PGM_RSRC2:TGID_X_EN: 1
; COMPUTE_PGM_RSRC2:TGID_Y_EN: 0
; COMPUTE_PGM_RSRC2:TGID_Z_EN: 0
; COMPUTE_PGM_RSRC2:TIDIG_COMP_CNT: 0
	.type	__hip_cuid_97749dafe2ea78d2,@object ; @__hip_cuid_97749dafe2ea78d2
	.section	.bss,"aw",@nobits
	.globl	__hip_cuid_97749dafe2ea78d2
__hip_cuid_97749dafe2ea78d2:
	.byte	0                               ; 0x0
	.size	__hip_cuid_97749dafe2ea78d2, 1

	.ident	"AMD clang version 19.0.0git (https://github.com/RadeonOpenCompute/llvm-project roc-6.4.0 25133 c7fe45cf4b819c5991fe208aaa96edf142730f1d)"
	.section	".note.GNU-stack","",@progbits
	.addrsig
	.addrsig_sym __hip_cuid_97749dafe2ea78d2
	.amdgpu_metadata
---
amdhsa.kernels:
  - .args:
      - .actual_access:  read_only
        .address_space:  global
        .offset:         0
        .size:           8
        .value_kind:     global_buffer
      - .offset:         8
        .size:           8
        .value_kind:     by_value
      - .actual_access:  read_only
        .address_space:  global
        .offset:         16
        .size:           8
        .value_kind:     global_buffer
      - .actual_access:  read_only
        .address_space:  global
        .offset:         24
        .size:           8
        .value_kind:     global_buffer
      - .actual_access:  read_only
        .address_space:  global
        .offset:         32
        .size:           8
        .value_kind:     global_buffer
      - .offset:         40
        .size:           8
        .value_kind:     by_value
      - .actual_access:  read_only
        .address_space:  global
        .offset:         48
        .size:           8
        .value_kind:     global_buffer
      - .actual_access:  read_only
        .address_space:  global
        .offset:         56
        .size:           8
        .value_kind:     global_buffer
      - .offset:         64
        .size:           4
        .value_kind:     by_value
      - .actual_access:  read_only
        .address_space:  global
        .offset:         72
        .size:           8
        .value_kind:     global_buffer
      - .actual_access:  read_only
        .address_space:  global
        .offset:         80
        .size:           8
        .value_kind:     global_buffer
      - .actual_access:  read_only
        .address_space:  global
        .offset:         88
        .size:           8
        .value_kind:     global_buffer
      - .actual_access:  write_only
        .address_space:  global
        .offset:         96
        .size:           8
        .value_kind:     global_buffer
    .group_segment_fixed_size: 0
    .kernarg_segment_align: 8
    .kernarg_segment_size: 104
    .language:       OpenCL C
    .language_version:
      - 2
      - 0
    .max_flat_workgroup_size: 216
    .name:           fft_rtc_fwd_len243_factors_3_3_3_3_3_wgs_216_tpt_27_sp_op_CI_CI_sbrc_unaligned
    .private_segment_fixed_size: 0
    .sgpr_count:     49
    .sgpr_spill_count: 0
    .symbol:         fft_rtc_fwd_len243_factors_3_3_3_3_3_wgs_216_tpt_27_sp_op_CI_CI_sbrc_unaligned.kd
    .uniform_work_group_size: 1
    .uses_dynamic_stack: false
    .vgpr_count:     39
    .vgpr_spill_count: 0
    .wavefront_size: 64
amdhsa.target:   amdgcn-amd-amdhsa--gfx906
amdhsa.version:
  - 1
  - 2
...

	.end_amdgpu_metadata
